;; amdgpu-corpus repo=ROCm/rocFFT kind=compiled arch=gfx1201 opt=O3
	.text
	.amdgcn_target "amdgcn-amd-amdhsa--gfx1201"
	.amdhsa_code_object_version 6
	.protected	fft_rtc_back_len50_factors_10_5_wgs_250_tpt_10_half_op_CI_CI_sbcc_twdbase8_2step ; -- Begin function fft_rtc_back_len50_factors_10_5_wgs_250_tpt_10_half_op_CI_CI_sbcc_twdbase8_2step
	.globl	fft_rtc_back_len50_factors_10_5_wgs_250_tpt_10_half_op_CI_CI_sbcc_twdbase8_2step
	.p2align	8
	.type	fft_rtc_back_len50_factors_10_5_wgs_250_tpt_10_half_op_CI_CI_sbcc_twdbase8_2step,@function
fft_rtc_back_len50_factors_10_5_wgs_250_tpt_10_half_op_CI_CI_sbcc_twdbase8_2step: ; @fft_rtc_back_len50_factors_10_5_wgs_250_tpt_10_half_op_CI_CI_sbcc_twdbase8_2step
; %bb.0:
	s_clause 0x1
	s_load_b128 s[12:15], s[0:1], 0x18
	s_load_b64 s[26:27], s[0:1], 0x28
	s_mov_b32 s3, 0
	s_mov_b32 s4, 0xd7093700
	s_mov_b32 s5, 51
	s_mov_b32 s2, s3
	s_movk_i32 s6, 0xffe7
	s_add_nc_u64 s[4:5], s[2:3], s[4:5]
	s_mov_b32 s7, -1
	s_add_co_i32 s5, s5, 0xa3d7070
	s_mov_b64 s[22:23], 0
	s_mul_u64 s[6:7], s[4:5], s[6:7]
	s_delay_alu instid0(SALU_CYCLE_1)
	s_mul_hi_u32 s9, s4, s7
	s_mul_i32 s8, s4, s7
	s_mul_hi_u32 s2, s4, s6
	s_mul_i32 s11, s5, s6
	s_add_nc_u64 s[8:9], s[2:3], s[8:9]
	s_mul_hi_u32 s10, s5, s6
	s_mul_hi_u32 s16, s5, s7
	s_wait_kmcnt 0x0
	s_load_b64 s[30:31], s[12:13], 0x8
	s_add_co_u32 s2, s8, s11
	s_add_co_ci_u32 s2, s9, s10
	s_mul_i32 s6, s5, s7
	s_add_co_ci_u32 s7, s16, 0
	s_delay_alu instid0(SALU_CYCLE_1) | instskip(NEXT) | instid1(SALU_CYCLE_1)
	s_add_nc_u64 s[6:7], s[2:3], s[6:7]
	v_add_co_u32 v1, s2, s4, s6
	s_delay_alu instid0(VALU_DEP_1) | instskip(SKIP_1) | instid1(VALU_DEP_1)
	s_cmp_lg_u32 s2, 0
	s_add_co_ci_u32 s8, s5, s7
	v_readfirstlane_b32 s9, v1
	s_wait_kmcnt 0x0
	s_add_nc_u64 s[4:5], s[30:31], -1
	s_wait_alu 0xfffe
	s_mul_hi_u32 s7, s4, s8
	s_mul_i32 s6, s4, s8
	s_mul_hi_u32 s2, s4, s9
	s_mul_hi_u32 s11, s5, s9
	s_mul_i32 s9, s5, s9
	s_wait_alu 0xfffe
	s_add_nc_u64 s[6:7], s[2:3], s[6:7]
	s_mul_hi_u32 s10, s5, s8
	s_wait_alu 0xfffe
	s_add_co_u32 s2, s6, s9
	s_add_co_ci_u32 s2, s7, s11
	s_mul_i32 s8, s5, s8
	s_add_co_ci_u32 s9, s10, 0
	s_delay_alu instid0(SALU_CYCLE_1) | instskip(SKIP_2) | instid1(SALU_CYCLE_1)
	s_add_nc_u64 s[6:7], s[2:3], s[8:9]
	s_wait_alu 0xfffe
	s_mul_u64 s[8:9], s[6:7], 25
	v_sub_co_u32 v1, s2, s4, s8
	s_delay_alu instid0(VALU_DEP_1) | instskip(SKIP_1) | instid1(VALU_DEP_1)
	s_cmp_lg_u32 s2, 0
	s_sub_co_ci_u32 s10, s5, s9
	v_sub_co_u32 v2, s4, v1, 25
	s_delay_alu instid0(VALU_DEP_1) | instskip(SKIP_2) | instid1(VALU_DEP_2)
	s_cmp_lg_u32 s4, 0
	v_readfirstlane_b32 s11, v1
	s_sub_co_ci_u32 s8, s10, 0
	v_readfirstlane_b32 s2, v2
	s_add_nc_u64 s[4:5], s[6:7], 1
	s_delay_alu instid0(VALU_DEP_1)
	s_cmp_gt_u32 s2, 24
	s_cselect_b32 s2, -1, 0
	s_wait_alu 0xfffe
	s_cmp_eq_u32 s8, 0
	s_add_nc_u64 s[8:9], s[6:7], 2
	s_cselect_b32 s2, s2, -1
	s_delay_alu instid0(SALU_CYCLE_1)
	s_cmp_lg_u32 s2, 0
	s_wait_alu 0xfffe
	s_cselect_b32 s2, s8, s4
	s_cselect_b32 s4, s9, s5
	s_cmp_gt_u32 s11, 24
	s_cselect_b32 s5, -1, 0
	s_cmp_eq_u32 s10, 0
	s_wait_alu 0xfffe
	s_cselect_b32 s5, s5, -1
	s_wait_alu 0xfffe
	s_cmp_lg_u32 s5, 0
	s_cselect_b32 s5, s4, s7
	s_cselect_b32 s4, s2, s6
	s_mov_b32 s2, ttmp9
	s_wait_alu 0xfffe
	s_add_nc_u64 s[36:37], s[4:5], 1
	s_delay_alu instid0(SALU_CYCLE_1) | instskip(NEXT) | instid1(VALU_DEP_1)
	v_cmp_lt_u64_e64 s4, s[2:3], s[36:37]
	s_and_b32 vcc_lo, exec_lo, s4
	s_cbranch_vccnz .LBB0_2
; %bb.1:
	v_cvt_f32_u32_e32 v1, s36
	s_sub_co_i32 s5, 0, s36
	s_mov_b32 s23, s3
	s_delay_alu instid0(VALU_DEP_1) | instskip(NEXT) | instid1(TRANS32_DEP_1)
	v_rcp_iflag_f32_e32 v1, v1
	v_mul_f32_e32 v1, 0x4f7ffffe, v1
	s_delay_alu instid0(VALU_DEP_1) | instskip(NEXT) | instid1(VALU_DEP_1)
	v_cvt_u32_f32_e32 v1, v1
	v_readfirstlane_b32 s4, v1
	s_wait_alu 0xfffe
	s_delay_alu instid0(VALU_DEP_1)
	s_mul_i32 s5, s5, s4
	s_wait_alu 0xfffe
	s_mul_hi_u32 s5, s4, s5
	s_wait_alu 0xfffe
	s_add_co_i32 s4, s4, s5
	s_wait_alu 0xfffe
	s_mul_hi_u32 s4, s2, s4
	s_wait_alu 0xfffe
	s_mul_i32 s5, s4, s36
	s_add_co_i32 s6, s4, 1
	s_wait_alu 0xfffe
	s_sub_co_i32 s5, s2, s5
	s_wait_alu 0xfffe
	s_sub_co_i32 s7, s5, s36
	s_cmp_ge_u32 s5, s36
	s_cselect_b32 s4, s6, s4
	s_wait_alu 0xfffe
	s_cselect_b32 s5, s7, s5
	s_add_co_i32 s6, s4, 1
	s_wait_alu 0xfffe
	s_cmp_ge_u32 s5, s36
	s_cselect_b32 s22, s6, s4
.LBB0_2:
	s_load_b128 s[8:11], s[0:1], 0x8
	s_load_b128 s[16:19], s[14:15], 0x0
	;; [unrolled: 1-line block ×3, first 2 shown]
	s_load_b64 s[24:25], s[0:1], 0x0
	s_mul_u64 s[20:21], s[22:23], s[36:37]
	s_delay_alu instid0(SALU_CYCLE_1) | instskip(NEXT) | instid1(SALU_CYCLE_1)
	s_sub_nc_u64 s[20:21], s[2:3], s[20:21]
	s_mul_u64 s[28:29], s[20:21], 25
	s_wait_kmcnt 0x0
	v_cmp_lt_u64_e64 s33, s[10:11], 3
	s_mul_u64 s[34:35], s[18:19], s[28:29]
	s_mul_u64 s[20:21], s[6:7], s[28:29]
	s_delay_alu instid0(VALU_DEP_1)
	s_and_b32 vcc_lo, exec_lo, s33
	s_cbranch_vccnz .LBB0_12
; %bb.3:
	s_add_nc_u64 s[38:39], s[26:27], 16
	s_add_nc_u64 s[40:41], s[14:15], 16
	;; [unrolled: 1-line block ×3, first 2 shown]
	s_mov_b64 s[42:43], 2
	s_mov_b32 s44, 0
.LBB0_4:                                ; =>This Inner Loop Header: Depth=1
	s_load_b64 s[46:47], s[12:13], 0x0
                                        ; implicit-def: $sgpr50_sgpr51
	s_wait_kmcnt 0x0
	s_or_b64 s[48:49], s[22:23], s[46:47]
	s_delay_alu instid0(SALU_CYCLE_1)
	s_mov_b32 s45, s49
	s_mov_b32 s49, -1
	s_cmp_lg_u64 s[44:45], 0
	s_cbranch_scc0 .LBB0_6
; %bb.5:                                ;   in Loop: Header=BB0_4 Depth=1
	s_cvt_f32_u32 s33, s46
	s_cvt_f32_u32 s45, s47
	s_sub_nc_u64 s[52:53], 0, s[46:47]
	s_mov_b32 s49, 0
	s_mov_b32 s57, s44
	s_wait_alu 0xfffe
	s_fmamk_f32 s33, s45, 0x4f800000, s33
	s_wait_alu 0xfffe
	s_delay_alu instid0(SALU_CYCLE_2) | instskip(NEXT) | instid1(TRANS32_DEP_1)
	v_s_rcp_f32 s33, s33
	s_mul_f32 s33, s33, 0x5f7ffffc
	s_wait_alu 0xfffe
	s_delay_alu instid0(SALU_CYCLE_2) | instskip(NEXT) | instid1(SALU_CYCLE_3)
	s_mul_f32 s45, s33, 0x2f800000
	s_trunc_f32 s45, s45
	s_delay_alu instid0(SALU_CYCLE_3) | instskip(SKIP_2) | instid1(SALU_CYCLE_1)
	s_fmamk_f32 s33, s45, 0xcf800000, s33
	s_cvt_u32_f32 s51, s45
	s_wait_alu 0xfffe
	s_cvt_u32_f32 s50, s33
	s_wait_alu 0xfffe
	s_delay_alu instid0(SALU_CYCLE_2)
	s_mul_u64 s[54:55], s[52:53], s[50:51]
	s_wait_alu 0xfffe
	s_mul_hi_u32 s59, s50, s55
	s_mul_i32 s58, s50, s55
	s_mul_hi_u32 s48, s50, s54
	s_mul_i32 s45, s51, s54
	s_add_nc_u64 s[58:59], s[48:49], s[58:59]
	s_mul_hi_u32 s33, s51, s54
	s_mul_hi_u32 s60, s51, s55
	s_add_co_u32 s45, s58, s45
	s_wait_alu 0xfffe
	s_add_co_ci_u32 s56, s59, s33
	s_mul_i32 s54, s51, s55
	s_add_co_ci_u32 s55, s60, 0
	s_wait_alu 0xfffe
	s_add_nc_u64 s[54:55], s[56:57], s[54:55]
	s_wait_alu 0xfffe
	v_add_co_u32 v1, s33, s50, s54
	s_delay_alu instid0(VALU_DEP_1) | instskip(SKIP_1) | instid1(VALU_DEP_1)
	s_cmp_lg_u32 s33, 0
	s_add_co_ci_u32 s51, s51, s55
	v_readfirstlane_b32 s50, v1
	s_mov_b32 s55, s44
	s_wait_alu 0xfffe
	s_delay_alu instid0(VALU_DEP_1)
	s_mul_u64 s[52:53], s[52:53], s[50:51]
	s_wait_alu 0xfffe
	s_mul_hi_u32 s57, s50, s53
	s_mul_i32 s56, s50, s53
	s_mul_hi_u32 s48, s50, s52
	s_mul_i32 s45, s51, s52
	s_add_nc_u64 s[56:57], s[48:49], s[56:57]
	s_mul_hi_u32 s33, s51, s52
	s_mul_hi_u32 s50, s51, s53
	s_add_co_u32 s45, s56, s45
	s_wait_alu 0xfffe
	s_add_co_ci_u32 s54, s57, s33
	s_mul_i32 s52, s51, s53
	s_add_co_ci_u32 s53, s50, 0
	s_wait_alu 0xfffe
	s_add_nc_u64 s[52:53], s[54:55], s[52:53]
	s_wait_alu 0xfffe
	v_add_co_u32 v1, s33, v1, s52
	s_delay_alu instid0(VALU_DEP_1) | instskip(SKIP_1) | instid1(VALU_DEP_1)
	s_cmp_lg_u32 s33, 0
	s_add_co_ci_u32 s33, s51, s53
	v_readfirstlane_b32 s45, v1
	s_wait_alu 0xfffe
	s_mul_hi_u32 s51, s22, s33
	s_mul_i32 s50, s22, s33
	s_mul_hi_u32 s53, s23, s33
	s_mul_i32 s52, s23, s33
	;; [unrolled: 2-line block ×3, first 2 shown]
	s_wait_alu 0xfffe
	s_add_nc_u64 s[50:51], s[48:49], s[50:51]
	s_mul_hi_u32 s45, s23, s45
	s_wait_alu 0xfffe
	s_add_co_u32 s33, s50, s33
	s_add_co_ci_u32 s54, s51, s45
	s_add_co_ci_u32 s53, s53, 0
	s_wait_alu 0xfffe
	s_add_nc_u64 s[50:51], s[54:55], s[52:53]
	s_wait_alu 0xfffe
	s_mul_u64 s[52:53], s[46:47], s[50:51]
	s_add_nc_u64 s[54:55], s[50:51], 1
	s_wait_alu 0xfffe
	v_sub_co_u32 v1, s33, s22, s52
	s_sub_co_i32 s45, s23, s53
	s_cmp_lg_u32 s33, 0
	s_add_nc_u64 s[56:57], s[50:51], 2
	s_delay_alu instid0(VALU_DEP_1) | instskip(SKIP_2) | instid1(VALU_DEP_1)
	v_sub_co_u32 v2, s48, v1, s46
	s_sub_co_ci_u32 s45, s45, s47
	s_cmp_lg_u32 s48, 0
	v_readfirstlane_b32 s48, v2
	s_sub_co_ci_u32 s45, s45, 0
	s_delay_alu instid0(SALU_CYCLE_1) | instskip(SKIP_1) | instid1(VALU_DEP_1)
	s_cmp_ge_u32 s45, s47
	s_cselect_b32 s52, -1, 0
	s_cmp_ge_u32 s48, s46
	s_cselect_b32 s48, -1, 0
	s_cmp_eq_u32 s45, s47
	s_wait_alu 0xfffe
	s_cselect_b32 s45, s48, s52
	s_delay_alu instid0(SALU_CYCLE_1)
	s_cmp_lg_u32 s45, 0
	s_cselect_b32 s45, s56, s54
	s_cselect_b32 s48, s57, s55
	s_cmp_lg_u32 s33, 0
	v_readfirstlane_b32 s33, v1
	s_sub_co_ci_u32 s52, s23, s53
	s_wait_alu 0xfffe
	s_cmp_ge_u32 s52, s47
	s_cselect_b32 s53, -1, 0
	s_cmp_ge_u32 s33, s46
	s_cselect_b32 s33, -1, 0
	s_cmp_eq_u32 s52, s47
	s_wait_alu 0xfffe
	s_cselect_b32 s33, s33, s53
	s_wait_alu 0xfffe
	s_cmp_lg_u32 s33, 0
	s_cselect_b32 s51, s48, s51
	s_cselect_b32 s50, s45, s50
.LBB0_6:                                ;   in Loop: Header=BB0_4 Depth=1
	s_and_not1_b32 vcc_lo, exec_lo, s49
	s_cbranch_vccnz .LBB0_8
; %bb.7:                                ;   in Loop: Header=BB0_4 Depth=1
	v_cvt_f32_u32_e32 v1, s46
	s_sub_co_i32 s45, 0, s46
	s_mov_b32 s51, s44
	s_delay_alu instid0(VALU_DEP_1) | instskip(NEXT) | instid1(TRANS32_DEP_1)
	v_rcp_iflag_f32_e32 v1, v1
	v_mul_f32_e32 v1, 0x4f7ffffe, v1
	s_delay_alu instid0(VALU_DEP_1) | instskip(NEXT) | instid1(VALU_DEP_1)
	v_cvt_u32_f32_e32 v1, v1
	v_readfirstlane_b32 s33, v1
	s_delay_alu instid0(VALU_DEP_1) | instskip(NEXT) | instid1(SALU_CYCLE_1)
	s_mul_i32 s45, s45, s33
	s_mul_hi_u32 s45, s33, s45
	s_delay_alu instid0(SALU_CYCLE_1)
	s_add_co_i32 s33, s33, s45
	s_wait_alu 0xfffe
	s_mul_hi_u32 s33, s22, s33
	s_wait_alu 0xfffe
	s_mul_i32 s45, s33, s46
	s_add_co_i32 s48, s33, 1
	s_sub_co_i32 s45, s22, s45
	s_delay_alu instid0(SALU_CYCLE_1)
	s_sub_co_i32 s49, s45, s46
	s_cmp_ge_u32 s45, s46
	s_cselect_b32 s33, s48, s33
	s_cselect_b32 s45, s49, s45
	s_wait_alu 0xfffe
	s_add_co_i32 s48, s33, 1
	s_cmp_ge_u32 s45, s46
	s_cselect_b32 s50, s48, s33
.LBB0_8:                                ;   in Loop: Header=BB0_4 Depth=1
	s_load_b64 s[48:49], s[40:41], 0x0
	s_load_b64 s[52:53], s[38:39], 0x0
	s_add_nc_u64 s[42:43], s[42:43], 1
	s_mul_u64 s[36:37], s[46:47], s[36:37]
	s_wait_alu 0xfffe
	v_cmp_ge_u64_e64 s33, s[42:43], s[10:11]
	s_mul_u64 s[46:47], s[50:51], s[46:47]
	s_add_nc_u64 s[38:39], s[38:39], 8
	s_wait_alu 0xfffe
	s_sub_nc_u64 s[22:23], s[22:23], s[46:47]
	s_add_nc_u64 s[40:41], s[40:41], 8
	s_add_nc_u64 s[12:13], s[12:13], 8
	s_and_b32 vcc_lo, exec_lo, s33
	s_wait_kmcnt 0x0
	s_wait_alu 0xfffe
	s_mul_u64 s[46:47], s[48:49], s[22:23]
	s_mul_u64 s[22:23], s[52:53], s[22:23]
	s_wait_alu 0xfffe
	s_add_nc_u64 s[34:35], s[46:47], s[34:35]
	s_add_nc_u64 s[20:21], s[22:23], s[20:21]
	s_cbranch_vccnz .LBB0_10
; %bb.9:                                ;   in Loop: Header=BB0_4 Depth=1
	s_mov_b64 s[22:23], s[50:51]
	s_branch .LBB0_4
.LBB0_10:
	v_cmp_lt_u64_e64 s3, s[2:3], s[36:37]
	s_mov_b64 s[22:23], 0
	s_delay_alu instid0(VALU_DEP_1)
	s_and_b32 vcc_lo, exec_lo, s3
	s_cbranch_vccnz .LBB0_12
; %bb.11:
	v_cvt_f32_u32_e32 v1, s36
	s_sub_co_i32 s12, 0, s36
	s_mov_b32 s23, 0
	s_delay_alu instid0(VALU_DEP_1) | instskip(NEXT) | instid1(TRANS32_DEP_1)
	v_rcp_iflag_f32_e32 v1, v1
	v_mul_f32_e32 v1, 0x4f7ffffe, v1
	s_delay_alu instid0(VALU_DEP_1) | instskip(NEXT) | instid1(VALU_DEP_1)
	v_cvt_u32_f32_e32 v1, v1
	v_readfirstlane_b32 s3, v1
	s_delay_alu instid0(VALU_DEP_1) | instskip(NEXT) | instid1(SALU_CYCLE_1)
	s_mul_i32 s12, s12, s3
	s_mul_hi_u32 s12, s3, s12
	s_delay_alu instid0(SALU_CYCLE_1) | instskip(SKIP_4) | instid1(SALU_CYCLE_1)
	s_add_co_i32 s3, s3, s12
	s_wait_alu 0xfffe
	s_mul_hi_u32 s3, s2, s3
	s_wait_alu 0xfffe
	s_mul_i32 s12, s3, s36
	s_sub_co_i32 s2, s2, s12
	s_add_co_i32 s12, s3, 1
	s_wait_alu 0xfffe
	s_sub_co_i32 s13, s2, s36
	s_cmp_ge_u32 s2, s36
	s_cselect_b32 s3, s12, s3
	s_cselect_b32 s2, s13, s2
	s_wait_alu 0xfffe
	s_add_co_i32 s12, s3, 1
	s_cmp_ge_u32 s2, s36
	s_cselect_b32 s22, s12, s3
.LBB0_12:
	v_mul_u32_u24_e32 v1, 0xa3e, v0
	s_load_b128 s[0:3], s[0:1], 0x60
	s_add_nc_u64 s[12:13], s[28:29], 25
	s_lshl_b64 s[10:11], s[10:11], 3
	v_cmp_le_u64_e64 s13, s[12:13], s[30:31]
	v_lshrrev_b32_e32 v12, 16, v1
	s_mov_b32 s12, 0
	s_delay_alu instid0(VALU_DEP_1)
	v_mul_lo_u16 v1, v12, 25
	v_lshlrev_b32_e32 v14, 2, v12
	v_add_nc_u32_e32 v11, 10, v12
	v_add_nc_u32_e32 v9, 20, v12
	;; [unrolled: 1-line block ×3, first 2 shown]
	v_sub_nc_u16 v1, v0, v1
	v_add_nc_u32_e32 v8, 40, v12
	s_delay_alu instid0(VALU_DEP_2) | instskip(NEXT) | instid1(VALU_DEP_1)
	v_and_b32_e32 v13, 0xffff, v1
	v_add_co_u32 v1, s33, s28, v13
	s_wait_alu 0xf1ff
	v_add_co_ci_u32_e64 v2, null, s29, 0, s33
	v_mul_u32_u24_e32 v15, 0xc8, v13
	s_delay_alu instid0(VALU_DEP_2)
	v_cmp_gt_u64_e32 vcc_lo, s[30:31], v[1:2]
	s_or_b32 s30, s13, vcc_lo
	s_wait_alu 0xfffe
	s_and_saveexec_b32 s13, s30
	s_cbranch_execz .LBB0_14
; %bb.13:
	s_add_nc_u64 s[14:15], s[14:15], s[10:11]
	v_mad_co_u64_u32 v[1:2], null, s18, v13, 0
	s_load_b64 s[14:15], s[14:15], 0x0
	v_mad_co_u64_u32 v[3:4], null, s16, v12, 0
	v_mad_co_u64_u32 v[5:6], null, s16, v11, 0
	;; [unrolled: 1-line block ×3, first 2 shown]
	s_delay_alu instid0(VALU_DEP_3) | instskip(NEXT) | instid1(VALU_DEP_3)
	v_mad_co_u64_u32 v[18:19], null, s19, v13, v[2:3]
	v_mad_co_u64_u32 v[19:20], null, s17, v12, v[4:5]
	s_delay_alu instid0(VALU_DEP_4) | instskip(NEXT) | instid1(VALU_DEP_4)
	v_mov_b32_e32 v4, v6
	v_mov_b32_e32 v6, v17
	s_lshl_b64 s[18:19], s[34:35], 2
	s_delay_alu instid0(VALU_DEP_1)
	v_mad_co_u64_u32 v[20:21], null, s17, v9, v[6:7]
	v_mad_co_u64_u32 v[21:22], null, s16, v8, 0
	v_mov_b32_e32 v2, v18
	s_wait_kmcnt 0x0
	s_mul_u64 s[14:15], s[14:15], s[22:23]
	v_mad_co_u64_u32 v[17:18], null, s17, v11, v[4:5]
	s_lshl_b64 s[14:15], s[14:15], 2
	v_lshlrev_b64_e32 v[1:2], 2, v[1:2]
	v_mov_b32_e32 v4, v19
	v_mad_co_u64_u32 v[18:19], null, s16, v10, 0
	s_add_nc_u64 s[0:1], s[0:1], s[14:15]
	s_delay_alu instid0(VALU_DEP_4)
	v_mov_b32_e32 v6, v17
	s_wait_alu 0xfffe
	s_add_nc_u64 s[0:1], s[0:1], s[18:19]
	v_mov_b32_e32 v17, v20
	v_add_co_u32 v23, vcc_lo, s0, v1
	v_add_co_ci_u32_e32 v24, vcc_lo, s1, v2, vcc_lo
	v_lshlrev_b64_e32 v[2:3], 2, v[3:4]
	v_mov_b32_e32 v1, v19
	v_lshlrev_b64_e32 v[4:5], 2, v[5:6]
	v_lshlrev_b64_e32 v[16:17], 2, v[16:17]
	s_delay_alu instid0(VALU_DEP_3)
	v_mad_co_u64_u32 v[19:20], null, s17, v10, v[1:2]
	v_mov_b32_e32 v1, v22
	v_add_co_u32 v2, vcc_lo, v23, v2
	s_wait_alu 0xfffd
	v_add_co_ci_u32_e32 v3, vcc_lo, v24, v3, vcc_lo
	v_add_co_u32 v4, vcc_lo, v23, v4
	s_delay_alu instid0(VALU_DEP_3) | instskip(SKIP_3) | instid1(VALU_DEP_3)
	v_mad_co_u64_u32 v[6:7], null, s17, v8, v[1:2]
	s_wait_alu 0xfffd
	v_add_co_ci_u32_e32 v5, vcc_lo, v24, v5, vcc_lo
	v_lshlrev_b64_e32 v[18:19], 2, v[18:19]
	v_mov_b32_e32 v22, v6
	v_add_co_u32 v6, vcc_lo, v23, v16
	s_wait_alu 0xfffd
	v_add_co_ci_u32_e32 v7, vcc_lo, v24, v17, vcc_lo
	s_delay_alu instid0(VALU_DEP_3) | instskip(SKIP_3) | instid1(VALU_DEP_3)
	v_lshlrev_b64_e32 v[16:17], 2, v[21:22]
	v_add_co_u32 v18, vcc_lo, v23, v18
	s_wait_alu 0xfffd
	v_add_co_ci_u32_e32 v19, vcc_lo, v24, v19, vcc_lo
	v_add_co_u32 v16, vcc_lo, v23, v16
	s_wait_alu 0xfffd
	v_add_co_ci_u32_e32 v17, vcc_lo, v24, v17, vcc_lo
	s_clause 0x4
	global_load_b32 v1, v[2:3], off
	global_load_b32 v2, v[4:5], off
	;; [unrolled: 1-line block ×5, first 2 shown]
	v_add3_u32 v6, 0, v15, v14
	s_wait_loadcnt 0x3
	ds_store_2addr_b32 v6, v1, v2 offset1:10
	s_wait_loadcnt 0x1
	ds_store_2addr_b32 v6, v3, v4 offset0:20 offset1:30
	s_wait_loadcnt 0x0
	ds_store_b32 v6, v5 offset:160
.LBB0_14:
	s_wait_alu 0xfffe
	s_or_b32 exec_lo, exec_lo, s13
	s_wait_kmcnt 0x0
	s_mov_b32 s0, 0xd7093700
	s_mov_b32 s1, 51
	;; [unrolled: 1-line block ×3, first 2 shown]
	s_movk_i32 s14, 0xffe7
	s_wait_alu 0xfffe
	s_add_nc_u64 s[0:1], s[12:13], s[0:1]
	s_mov_b32 s15, -1
	s_wait_alu 0xfffe
	s_add_co_i32 s1, s1, 0xa3d7070
	v_and_b32_e32 v1, 0xffff, v0
	s_wait_alu 0xfffe
	s_mul_u64 s[14:15], s[0:1], s[14:15]
	s_mov_b32 s19, s12
	s_mul_hi_u32 s17, s0, s15
	s_mul_i32 s16, s0, s15
	s_mul_hi_u32 s18, s0, s14
	v_mul_u32_u24_e32 v1, 0x199a, v1
	s_mul_hi_u32 s13, s1, s14
	s_mul_i32 s14, s1, s14
	s_wait_alu 0xfffe
	s_add_nc_u64 s[16:17], s[18:19], s[16:17]
	s_mul_hi_u32 s18, s1, s15
	s_wait_alu 0xfffe
	s_add_co_u32 s14, s16, s14
	s_add_co_ci_u32 s14, s17, s13
	s_add_co_ci_u32 s17, s18, 0
	s_mul_i32 s16, s1, s15
	s_mov_b32 s15, s12
	v_lshrrev_b32_e32 v5, 16, v1
	s_wait_alu 0xfffe
	s_add_nc_u64 s[12:13], s[14:15], s[16:17]
	global_wb scope:SCOPE_SE
	s_wait_dscnt 0x0
	s_wait_alu 0xfffe
	v_add_co_u32 v3, s0, s0, s12
	s_delay_alu instid0(VALU_DEP_1) | instskip(SKIP_4) | instid1(VALU_DEP_2)
	s_cmp_lg_u32 s0, 0
	v_add_co_u32 v17, s0, s28, v5
	s_wait_alu 0xf1ff
	v_add_co_ci_u32_e64 v6, null, s29, 0, s0
	s_add_co_ci_u32 s0, s1, s13
	v_mul_hi_u32 v7, v17, v3
	s_wait_alu 0xfffe
	v_mad_co_u64_u32 v[1:2], null, v17, s0, 0
	v_mad_co_u64_u32 v[3:4], null, v6, v3, 0
	v_mul_lo_u16 v5, v5, 10
	s_barrier_signal -1
	s_barrier_wait -1
	global_inv scope:SCOPE_SE
	v_add_co_u32 v7, vcc_lo, v7, v1
	s_wait_alu 0xfffd
	v_add_co_ci_u32_e32 v16, vcc_lo, 0, v2, vcc_lo
	v_mad_co_u64_u32 v[1:2], null, v6, s0, 0
	s_delay_alu instid0(VALU_DEP_3) | instskip(SKIP_1) | instid1(VALU_DEP_3)
	v_add_co_u32 v3, vcc_lo, v7, v3
	s_wait_alu 0xfffd
	v_add_co_ci_u32_e32 v3, vcc_lo, v16, v4, vcc_lo
	v_sub_nc_u16 v24, v0, v5
	s_add_nc_u64 s[0:1], s[26:27], s[10:11]
	s_wait_alu 0xfffd
	s_delay_alu instid0(VALU_DEP_4) | instskip(SKIP_3) | instid1(VALU_DEP_2)
	v_add_co_ci_u32_e32 v2, vcc_lo, 0, v2, vcc_lo
	v_add_co_u32 v1, vcc_lo, v3, v1
	s_mov_b32 s10, exec_lo
	s_wait_alu 0xfffd
	v_add_co_ci_u32_e32 v3, vcc_lo, 0, v2, vcc_lo
	s_delay_alu instid0(VALU_DEP_2) | instskip(SKIP_1) | instid1(VALU_DEP_2)
	v_mad_co_u64_u32 v[1:2], null, v1, 25, 0
	v_and_b32_e32 v19, 0xffff, v24
	v_mad_co_u64_u32 v[2:3], null, v3, 25, v[2:3]
	s_delay_alu instid0(VALU_DEP_3) | instskip(SKIP_1) | instid1(VALU_DEP_2)
	v_sub_co_u32 v1, vcc_lo, v17, v1
	s_wait_alu 0xfffd
	v_sub_co_ci_u32_e32 v2, vcc_lo, v6, v2, vcc_lo
	s_delay_alu instid0(VALU_DEP_2) | instskip(SKIP_1) | instid1(VALU_DEP_2)
	v_sub_co_u32 v3, vcc_lo, v1, 25
	s_wait_alu 0xfffd
	v_subrev_co_ci_u32_e32 v4, vcc_lo, 0, v2, vcc_lo
	s_delay_alu instid0(VALU_DEP_2)
	v_cmp_lt_u32_e32 vcc_lo, 24, v3
	s_wait_alu 0xfffd
	v_cndmask_b32_e64 v6, 0, -1, vcc_lo
	v_cmp_lt_u32_e32 vcc_lo, 24, v1
	s_wait_alu 0xfffd
	v_cndmask_b32_e64 v7, 0, -1, vcc_lo
	v_cmp_eq_u32_e32 vcc_lo, 0, v4
	s_wait_alu 0xfffd
	v_cndmask_b32_e32 v4, -1, v6, vcc_lo
	v_cmp_eq_u32_e32 vcc_lo, 0, v2
	v_subrev_nc_u32_e32 v6, 25, v3
	s_wait_alu 0xfffd
	v_cndmask_b32_e32 v0, -1, v7, vcc_lo
	v_cmp_ne_u32_e32 vcc_lo, 0, v4
	s_wait_alu 0xfffd
	v_cndmask_b32_e32 v2, v3, v6, vcc_lo
	s_delay_alu instid0(VALU_DEP_3) | instskip(SKIP_1) | instid1(VALU_DEP_2)
	v_cmp_ne_u32_e32 vcc_lo, 0, v0
	s_wait_alu 0xfffd
	v_dual_cndmask_b32 v0, v1, v2 :: v_dual_lshlrev_b32 v1, 2, v19
	s_delay_alu instid0(VALU_DEP_1) | instskip(NEXT) | instid1(VALU_DEP_2)
	v_mul_u32_u24_e32 v0, 50, v0
	v_add_nc_u32_e32 v20, 0, v1
	s_delay_alu instid0(VALU_DEP_2) | instskip(NEXT) | instid1(VALU_DEP_1)
	v_lshlrev_b32_e32 v21, 2, v0
	v_add_nc_u32_e32 v16, v20, v21
	v_add3_u32 v18, 0, v21, v1
	ds_load_2addr_b32 v[6:7], v16 offset0:5 offset1:10
	ds_load_2addr_b32 v[4:5], v16 offset0:15 offset1:20
	;; [unrolled: 1-line block ×4, first 2 shown]
	ds_load_b32 v22, v18
	ds_load_b32 v23, v16 offset:180
	global_wb scope:SCOPE_SE
	s_wait_dscnt 0x0
	s_barrier_signal -1
	s_barrier_wait -1
	global_inv scope:SCOPE_SE
	v_cmpx_gt_u16_e32 5, v24
	s_cbranch_execz .LBB0_16
; %bb.15:
	v_lshrrev_b32_e32 v24, 16, v5
	v_lshrrev_b32_e32 v25, 16, v3
	;; [unrolled: 1-line block ×4, first 2 shown]
	v_sub_f16_e32 v40, v23, v0
	v_sub_f16_e32 v47, v4, v2
	v_lshrrev_b32_e32 v28, 16, v22
	v_add_f16_e32 v29, v24, v25
	v_lshrrev_b32_e32 v30, 16, v2
	v_lshrrev_b32_e32 v31, 16, v0
	v_add_f16_e32 v40, v47, v40
	v_add_f16_e32 v47, v26, v27
	v_fma_f16 v29, -0.5, v29, v28
	v_lshrrev_b32_e32 v38, 16, v4
	v_lshrrev_b32_e32 v39, 16, v23
	v_sub_f16_e32 v49, v30, v31
	v_fmac_f16_e32 v28, -0.5, v47
	v_add_f16_e32 v47, v4, v23
	v_add_f16_e32 v35, v30, v31
	v_lshrrev_b32_e32 v36, 16, v6
	v_add_f16_e32 v51, v38, v39
	v_add_f16_e32 v37, v2, v0
	v_fma_f16 v47, -0.5, v47, v6
	v_sub_f16_e32 v42, v38, v39
	v_sub_f16_e32 v44, v39, v31
	;; [unrolled: 1-line block ×5, first 2 shown]
	v_fmamk_f16 v55, v49, 0xbb9c, v47
	v_fmac_f16_e32 v47, 0x3b9c, v49
	v_sub_f16_e32 v34, v7, v1
	v_fma_f16 v35, -0.5, v35, v36
	v_sub_f16_e32 v43, v38, v30
	v_sub_f16_e32 v46, v2, v0
	v_fmac_f16_e32 v36, -0.5, v51
	v_sub_f16_e32 v41, v4, v23
	v_fma_f16 v37, -0.5, v37, v6
	v_add_f16_e32 v39, v54, v39
	v_fmac_f16_e32 v55, 0x38b4, v42
	v_fmac_f16_e32 v47, 0xb8b4, v42
	v_sub_f16_e32 v32, v26, v24
	v_sub_f16_e32 v33, v27, v25
	v_add_f16_e32 v43, v43, v44
	v_fmamk_f16 v44, v34, 0xbb9c, v29
	v_sub_f16_e32 v50, v5, v3
	v_sub_f16_e32 v30, v30, v38
	v_fmamk_f16 v38, v46, 0x3b9c, v36
	v_fmac_f16_e32 v36, 0xbb9c, v46
	v_fmac_f16_e32 v29, 0x3b9c, v34
	v_fmamk_f16 v45, v41, 0xbb9c, v35
	v_fmamk_f16 v48, v42, 0x3b9c, v37
	v_fmac_f16_e32 v55, 0x34f2, v39
	v_fmac_f16_e32 v37, 0xbb9c, v42
	;; [unrolled: 1-line block ×4, first 2 shown]
	v_add_f16_e32 v39, v5, v3
	v_add_f16_e32 v32, v32, v33
	v_fmac_f16_e32 v44, 0xb8b4, v50
	v_fmac_f16_e32 v38, 0xb8b4, v41
	;; [unrolled: 1-line block ×4, first 2 shown]
	v_add_f16_e32 v41, v7, v1
	v_fmac_f16_e32 v45, 0xb8b4, v46
	v_sub_f16_e32 v52, v24, v26
	v_sub_f16_e32 v53, v25, v27
	v_fmamk_f16 v51, v50, 0x3b9c, v28
	v_fmac_f16_e32 v28, 0xbb9c, v50
	v_fmac_f16_e32 v37, 0xb8b4, v49
	;; [unrolled: 1-line block ×3, first 2 shown]
	v_fma_f16 v39, -0.5, v39, v22
	v_sub_f16_e32 v26, v26, v27
	v_fmac_f16_e32 v44, 0x34f2, v32
	v_add_f16_e32 v30, v30, v31
	v_fmac_f16_e32 v29, 0x34f2, v32
	v_sub_f16_e32 v32, v1, v3
	v_sub_f16_e32 v27, v7, v5
	v_pk_add_f16 v42, v22, v7
	v_sub_f16_e32 v24, v24, v25
	v_fmac_f16_e32 v22, -0.5, v41
	v_fmac_f16_e32 v48, 0x38b4, v49
	v_fmac_f16_e32 v45, 0x34f2, v43
	v_add_f16_e32 v31, v52, v53
	v_fmac_f16_e32 v51, 0xb8b4, v34
	v_fmac_f16_e32 v28, 0x38b4, v34
	;; [unrolled: 1-line block ×4, first 2 shown]
	v_fmamk_f16 v25, v26, 0x3b9c, v39
	v_fmac_f16_e32 v39, 0xbb9c, v26
	v_pk_add_f16 v4, v6, v4
	v_fmac_f16_e32 v38, 0x34f2, v30
	v_fmac_f16_e32 v36, 0x34f2, v30
	v_add_f16_e32 v27, v27, v32
	v_sub_f16_e32 v32, v3, v1
	v_sub_f16_e32 v7, v5, v7
	v_fmamk_f16 v41, v24, 0xbb9c, v22
	v_fmac_f16_e32 v22, 0x3b9c, v24
	v_fmac_f16_e32 v48, 0x34f2, v40
	v_mul_f16_e32 v33, 0xba79, v45
	v_fmac_f16_e32 v51, 0x34f2, v31
	v_fmac_f16_e32 v28, 0x34f2, v31
	v_mul_f16_e32 v31, 0x38b4, v37
	v_fmac_f16_e32 v25, 0x38b4, v24
	v_mul_f16_e32 v45, 0xb8b4, v45
	;; [unrolled: 2-line block ×3, first 2 shown]
	v_pk_add_f16 v5, v42, v5
	v_pk_add_f16 v2, v4, v2
	v_mul_f16_e32 v53, 0xb4f2, v38
	v_mul_f16_e32 v30, 0x34f2, v36
	v_add_f16_e32 v7, v7, v32
	v_fmac_f16_e32 v41, 0x38b4, v26
	v_mul_f16_e32 v32, 0xbb9c, v38
	v_fmac_f16_e32 v22, 0xb8b4, v26
	v_mul_f16_e32 v26, 0xbb9c, v36
	v_fmac_f16_e32 v31, 0x3a79, v35
	v_fmac_f16_e32 v25, 0x34f2, v27
	;; [unrolled: 1-line block ×5, first 2 shown]
	v_pk_add_f16 v3, v5, v3
	v_pk_add_f16 v0, v2, v0
	v_fmac_f16_e32 v33, 0x38b4, v48
	v_fmac_f16_e32 v53, 0x3b9c, v55
	;; [unrolled: 1-line block ×7, first 2 shown]
	v_sub_f16_e32 v6, v25, v45
	v_add_f16_e32 v2, v29, v31
	v_add_f16_e32 v5, v25, v45
	v_mul_u32_u24_e32 v25, 36, v19
	v_pk_add_f16 v1, v3, v1
	v_pk_add_f16 v0, v0, v23
	v_add_f16_e32 v3, v39, v24
	v_sub_f16_e32 v52, v44, v33
	v_sub_f16_e32 v40, v28, v30
	v_sub_f16_e32 v27, v22, v26
	v_add_f16_e32 v4, v44, v33
	v_add_f16_e32 v33, v51, v53
	;; [unrolled: 1-line block ×5, first 2 shown]
	v_sub_f16_e32 v43, v29, v31
	v_sub_f16_e32 v35, v39, v24
	;; [unrolled: 1-line block ×4, first 2 shown]
	v_add3_u32 v20, v20, v25, v21
	v_pk_add_f16 v21, v1, v0
	v_pack_b32_f16 v2, v3, v2
	v_pack_b32_f16 v3, v23, v33
	;; [unrolled: 1-line block ×3, first 2 shown]
	v_pk_add_f16 v0, v1, v0 neg_lo:[0,1] neg_hi:[0,1]
	v_pack_b32_f16 v1, v5, v4
	v_pack_b32_f16 v4, v27, v40
	;; [unrolled: 1-line block ×5, first 2 shown]
	ds_store_2addr_b32 v20, v21, v2 offset1:1
	ds_store_2addr_b32 v20, v22, v3 offset0:2 offset1:3
	ds_store_2addr_b32 v20, v1, v0 offset0:4 offset1:5
	;; [unrolled: 1-line block ×4, first 2 shown]
.LBB0_16:
	s_wait_alu 0xfffe
	s_or_b32 exec_lo, exec_lo, s10
	v_lshlrev_b32_e32 v0, 4, v19
	v_mul_lo_u32 v4, v17, v19
	s_load_b64 s[0:1], s[0:1], 0x0
	global_wb scope:SCOPE_SE
	s_wait_dscnt 0x0
	s_wait_kmcnt 0x0
	s_barrier_signal -1
	s_barrier_wait -1
	global_inv scope:SCOPE_SE
	global_load_b128 v[0:3], v0, s[24:25]
	v_add_nc_u32_e32 v6, 10, v19
	v_and_b32_e32 v5, 0xff, v4
	v_lshrrev_b32_e32 v4, 6, v4
	v_add_nc_u32_e32 v7, 20, v19
	v_add_nc_u32_e32 v20, 30, v19
	;; [unrolled: 1-line block ×3, first 2 shown]
	v_lshlrev_b32_e32 v5, 2, v5
	v_and_b32_e32 v4, 0x3fc, v4
	v_mul_lo_u32 v6, v17, v6
	v_mul_lo_u32 v7, v17, v7
	s_clause 0x1
	global_load_b32 v21, v5, s[8:9]
	global_load_b32 v22, v4, s[8:9] offset:1024
	v_mul_lo_u32 v4, v17, v20
	v_mul_lo_u32 v5, v17, v19
	v_and_b32_e32 v17, 0xff, v6
	v_lshrrev_b32_e32 v6, 6, v6
	v_and_b32_e32 v19, 0xff, v7
	v_lshrrev_b32_e32 v7, 6, v7
	v_and_b32_e32 v20, 0xff, v4
	v_and_b32_e32 v23, 0xff, v5
	v_lshrrev_b32_e32 v4, 6, v4
	v_lshrrev_b32_e32 v5, 6, v5
	v_lshlrev_b32_e32 v17, 2, v17
	v_and_b32_e32 v6, 0x3fc, v6
	v_lshlrev_b32_e32 v19, 2, v19
	v_and_b32_e32 v7, 0x3fc, v7
	v_lshlrev_b32_e32 v20, 2, v20
	v_lshlrev_b32_e32 v23, 2, v23
	v_and_b32_e32 v4, 0x3fc, v4
	v_and_b32_e32 v5, 0x3fc, v5
	s_clause 0x7
	global_load_b32 v17, v17, s[8:9]
	global_load_b32 v24, v6, s[8:9] offset:1024
	global_load_b32 v19, v19, s[8:9]
	global_load_b32 v25, v7, s[8:9] offset:1024
	global_load_b32 v20, v20, s[8:9]
	global_load_b32 v26, v4, s[8:9] offset:1024
	global_load_b32 v23, v23, s[8:9]
	global_load_b32 v27, v5, s[8:9] offset:1024
	ds_load_2addr_b32 v[4:5], v16 offset0:10 offset1:20
	ds_load_2addr_b32 v[6:7], v16 offset0:30 offset1:40
	ds_load_b32 v28, v18
	ds_load_u16 v18, v18 offset:2
	global_wb scope:SCOPE_SE
	s_wait_loadcnt_dscnt 0x0
	s_barrier_signal -1
	s_barrier_wait -1
	global_inv scope:SCOPE_SE
	v_lshrrev_b32_e32 v29, 16, v4
	v_lshrrev_b32_e32 v30, 16, v5
	v_lshrrev_b32_e32 v31, 16, v6
	v_lshrrev_b32_e32 v32, 16, v7
	v_lshrrev_b32_e32 v33, 16, v0
	v_lshrrev_b32_e32 v34, 16, v1
	v_lshrrev_b32_e32 v35, 16, v2
	v_lshrrev_b32_e32 v36, 16, v3
	s_delay_alu instid0(VALU_DEP_4)
	v_mul_f16_e32 v37, v33, v29
	v_mul_f16_e32 v33, v33, v4
	;; [unrolled: 1-line block ×8, first 2 shown]
	v_fmac_f16_e32 v37, v0, v4
	v_fma_f16 v0, v0, v29, -v33
	v_fmac_f16_e32 v38, v1, v5
	v_fma_f16 v1, v1, v30, -v34
	;; [unrolled: 2-line block ×4, first 2 shown]
	v_add_f16_e32 v6, v37, v28
	v_add_f16_e32 v7, v38, v39
	;; [unrolled: 1-line block ×6, first 2 shown]
	v_lshrrev_b32_e32 v4, 16, v21
	v_lshrrev_b32_e32 v5, 16, v22
	v_sub_f16_e32 v29, v0, v3
	v_sub_f16_e32 v30, v1, v2
	;; [unrolled: 1-line block ×7, first 2 shown]
	v_add_f16_e32 v6, v6, v38
	v_fma_f16 v7, -0.5, v7, v28
	v_fmac_f16_e32 v28, -0.5, v33
	v_add_f16_e32 v1, v36, v1
	v_fma_f16 v33, -0.5, v41, v18
	v_sub_f16_e32 v42, v38, v39
	v_sub_f16_e32 v46, v2, v3
	v_fmac_f16_e32 v18, -0.5, v45
	v_sub_f16_e32 v32, v40, v39
	v_sub_f16_e32 v35, v39, v40
	;; [unrolled: 1-line block ×3, first 2 shown]
	v_mul_f16_e32 v47, v4, v5
	v_mul_f16_e32 v5, v21, v5
	v_lshrrev_b32_e32 v49, 16, v24
	v_add_f16_e32 v6, v6, v39
	v_fmamk_f16 v39, v29, 0xbb9c, v7
	v_add_f16_e32 v1, v1, v2
	v_fmamk_f16 v2, v37, 0x3b9c, v33
	v_lshrrev_b32_e32 v51, 16, v25
	v_lshrrev_b32_e32 v53, 16, v26
	v_add_f16_e32 v0, v0, v46
	v_fmamk_f16 v45, v30, 0x3b9c, v28
	v_fmac_f16_e32 v28, 0xbb9c, v30
	v_fmamk_f16 v46, v42, 0xbb9c, v18
	v_fmac_f16_e32 v18, 0x3b9c, v42
	v_lshrrev_b32_e32 v55, 16, v27
	v_fmac_f16_e32 v7, 0x3b9c, v29
	v_fmac_f16_e32 v33, 0xbb9c, v37
	v_lshrrev_b32_e32 v48, 16, v17
	v_add_f16_e32 v31, v31, v32
	v_add_f16_e32 v32, v34, v35
	;; [unrolled: 1-line block ×3, first 2 shown]
	v_fma_f16 v21, v21, v22, -v47
	v_fmac_f16_e32 v5, v4, v22
	v_mul_f16_e32 v22, v17, v49
	v_add_f16_e32 v6, v6, v40
	v_fmac_f16_e32 v39, 0xb8b4, v30
	v_add_f16_e32 v1, v1, v3
	v_fmac_f16_e32 v2, 0x38b4, v42
	v_lshrrev_b32_e32 v50, 16, v19
	v_lshrrev_b32_e32 v52, 16, v20
	;; [unrolled: 1-line block ×3, first 2 shown]
	v_mul_f16_e32 v36, v19, v51
	v_mul_f16_e32 v41, v20, v53
	v_fmac_f16_e32 v45, 0xb8b4, v29
	v_fmac_f16_e32 v28, 0x38b4, v29
	;; [unrolled: 1-line block ×4, first 2 shown]
	v_mul_f16_e32 v44, v23, v55
	v_fmac_f16_e32 v7, 0x38b4, v30
	v_fmac_f16_e32 v33, 0xb8b4, v42
	v_mul_f16_e32 v4, v48, v49
	v_fmac_f16_e32 v22, v48, v24
	v_fmac_f16_e32 v39, 0x34f2, v31
	;; [unrolled: 1-line block ×3, first 2 shown]
	v_mul_f16_e32 v3, v1, v5
	v_mul_f16_e32 v5, v6, v5
	;; [unrolled: 1-line block ×5, first 2 shown]
	v_fmac_f16_e32 v36, v50, v25
	v_fmac_f16_e32 v41, v52, v26
	;; [unrolled: 1-line block ×9, first 2 shown]
	v_fma_f16 v4, v17, v24, -v4
	v_fma_f16 v0, v1, v21, -v5
	v_mul_f16_e32 v1, v2, v22
	v_mul_f16_e32 v5, v39, v22
	v_fma_f16 v17, v19, v25, -v35
	v_fma_f16 v19, v20, v26, -v38
	;; [unrolled: 1-line block ×3, first 2 shown]
	v_fmac_f16_e32 v3, v6, v21
	v_mul_f16_e32 v6, v46, v36
	v_mul_f16_e32 v21, v45, v36
	v_mul_f16_e32 v22, v18, v41
	v_mul_f16_e32 v23, v28, v41
	v_mul_f16_e32 v24, v33, v44
	v_mul_f16_e32 v25, v7, v44
	v_fmac_f16_e32 v1, v39, v4
	v_fma_f16 v2, v2, v4, -v5
	v_fmac_f16_e32 v6, v45, v17
	v_fma_f16 v4, v46, v17, -v21
	;; [unrolled: 2-line block ×4, first 2 shown]
	v_pack_b32_f16 v0, v3, v0
	v_pack_b32_f16 v1, v1, v2
	;; [unrolled: 1-line block ×5, first 2 shown]
	ds_store_2addr_b32 v16, v0, v1 offset1:10
	ds_store_2addr_b32 v16, v2, v3 offset0:20 offset1:30
	ds_store_b32 v16, v4 offset:160
	global_wb scope:SCOPE_SE
	s_wait_dscnt 0x0
	s_barrier_signal -1
	s_barrier_wait -1
	global_inv scope:SCOPE_SE
	s_and_saveexec_b32 s8, s30
	s_cbranch_execz .LBB0_18
; %bb.17:
	v_mad_co_u64_u32 v[0:1], null, s6, v13, 0
	v_mad_co_u64_u32 v[2:3], null, s4, v12, 0
	s_mul_u64 s[0:1], s[0:1], s[22:23]
	v_add3_u32 v21, 0, v15, v14
	s_wait_alu 0xfffe
	s_lshl_b64 s[0:1], s[0:1], 2
	v_mad_co_u64_u32 v[14:15], null, s4, v10, 0
	s_wait_alu 0xfffe
	s_add_nc_u64 s[0:1], s[2:3], s[0:1]
	v_mad_co_u64_u32 v[4:5], null, s7, v13, v[1:2]
	s_lshl_b64 s[6:7], s[20:21], 2
	s_wait_alu 0xfffe
	s_add_nc_u64 s[0:1], s[0:1], s[6:7]
	s_delay_alu instid0(VALU_DEP_1) | instskip(SKIP_3) | instid1(VALU_DEP_4)
	v_mad_co_u64_u32 v[5:6], null, s5, v12, v[3:4]
	v_mad_co_u64_u32 v[6:7], null, s4, v11, 0
	v_mov_b32_e32 v1, v4
	v_mad_co_u64_u32 v[12:13], null, s4, v9, 0
	v_mov_b32_e32 v3, v5
	s_delay_alu instid0(VALU_DEP_3)
	v_lshlrev_b64_e32 v[0:1], 2, v[0:1]
	ds_load_2addr_b32 v[4:5], v21 offset1:10
	v_lshlrev_b64_e32 v[2:3], 2, v[2:3]
	s_wait_alu 0xfffe
	v_add_co_u32 v22, vcc_lo, s0, v0
	s_wait_alu 0xfffd
	v_add_co_ci_u32_e32 v23, vcc_lo, s1, v1, vcc_lo
	v_mov_b32_e32 v0, v7
	s_delay_alu instid0(VALU_DEP_3) | instskip(SKIP_1) | instid1(VALU_DEP_3)
	v_add_co_u32 v1, vcc_lo, v22, v2
	s_wait_alu 0xfffd
	v_add_co_ci_u32_e32 v2, vcc_lo, v23, v3, vcc_lo
	s_delay_alu instid0(VALU_DEP_2)
	v_mad_co_u64_u32 v[16:17], null, s5, v11, v[0:1]
	v_mov_b32_e32 v0, v13
	v_mad_co_u64_u32 v[17:18], null, s4, v8, 0
	v_mov_b32_e32 v3, v15
	s_wait_dscnt 0x0
	global_store_b32 v[1:2], v4, off
	v_mad_co_u64_u32 v[19:20], null, s5, v9, v[0:1]
	v_dual_mov_b32 v7, v16 :: v_dual_mov_b32 v0, v18
	v_mad_co_u64_u32 v[9:10], null, s5, v10, v[3:4]
	s_delay_alu instid0(VALU_DEP_2) | instskip(NEXT) | instid1(VALU_DEP_4)
	v_lshlrev_b64_e32 v[1:2], 2, v[6:7]
	v_mov_b32_e32 v13, v19
	s_delay_alu instid0(VALU_DEP_2) | instskip(NEXT) | instid1(VALU_DEP_4)
	v_mad_co_u64_u32 v[3:4], null, s5, v8, v[0:1]
	v_mov_b32_e32 v15, v9
	ds_load_2addr_b32 v[8:9], v21 offset0:20 offset1:30
	v_lshlrev_b64_e32 v[6:7], 2, v[12:13]
	ds_load_b32 v4, v21 offset:160
	v_add_co_u32 v0, vcc_lo, v22, v1
	v_mov_b32_e32 v18, v3
	s_wait_alu 0xfffd
	v_add_co_ci_u32_e32 v1, vcc_lo, v23, v2, vcc_lo
	v_lshlrev_b64_e32 v[10:11], 2, v[14:15]
	v_add_co_u32 v2, vcc_lo, v22, v6
	s_wait_alu 0xfffd
	v_add_co_ci_u32_e32 v3, vcc_lo, v23, v7, vcc_lo
	v_lshlrev_b64_e32 v[6:7], 2, v[17:18]
	s_delay_alu instid0(VALU_DEP_4) | instskip(SKIP_2) | instid1(VALU_DEP_3)
	v_add_co_u32 v10, vcc_lo, v22, v10
	s_wait_alu 0xfffd
	v_add_co_ci_u32_e32 v11, vcc_lo, v23, v11, vcc_lo
	v_add_co_u32 v6, vcc_lo, v22, v6
	s_wait_alu 0xfffd
	v_add_co_ci_u32_e32 v7, vcc_lo, v23, v7, vcc_lo
	global_store_b32 v[0:1], v5, off
	s_wait_dscnt 0x1
	s_clause 0x1
	global_store_b32 v[2:3], v8, off
	global_store_b32 v[10:11], v9, off
	s_wait_dscnt 0x0
	global_store_b32 v[6:7], v4, off
.LBB0_18:
	s_nop 0
	s_sendmsg sendmsg(MSG_DEALLOC_VGPRS)
	s_endpgm
	.section	.rodata,"a",@progbits
	.p2align	6, 0x0
	.amdhsa_kernel fft_rtc_back_len50_factors_10_5_wgs_250_tpt_10_half_op_CI_CI_sbcc_twdbase8_2step
		.amdhsa_group_segment_fixed_size 0
		.amdhsa_private_segment_fixed_size 0
		.amdhsa_kernarg_size 112
		.amdhsa_user_sgpr_count 2
		.amdhsa_user_sgpr_dispatch_ptr 0
		.amdhsa_user_sgpr_queue_ptr 0
		.amdhsa_user_sgpr_kernarg_segment_ptr 1
		.amdhsa_user_sgpr_dispatch_id 0
		.amdhsa_user_sgpr_private_segment_size 0
		.amdhsa_wavefront_size32 1
		.amdhsa_uses_dynamic_stack 0
		.amdhsa_enable_private_segment 0
		.amdhsa_system_sgpr_workgroup_id_x 1
		.amdhsa_system_sgpr_workgroup_id_y 0
		.amdhsa_system_sgpr_workgroup_id_z 0
		.amdhsa_system_sgpr_workgroup_info 0
		.amdhsa_system_vgpr_workitem_id 0
		.amdhsa_next_free_vgpr 56
		.amdhsa_next_free_sgpr 61
		.amdhsa_reserve_vcc 1
		.amdhsa_float_round_mode_32 0
		.amdhsa_float_round_mode_16_64 0
		.amdhsa_float_denorm_mode_32 3
		.amdhsa_float_denorm_mode_16_64 3
		.amdhsa_fp16_overflow 0
		.amdhsa_workgroup_processor_mode 1
		.amdhsa_memory_ordered 1
		.amdhsa_forward_progress 0
		.amdhsa_round_robin_scheduling 0
		.amdhsa_exception_fp_ieee_invalid_op 0
		.amdhsa_exception_fp_denorm_src 0
		.amdhsa_exception_fp_ieee_div_zero 0
		.amdhsa_exception_fp_ieee_overflow 0
		.amdhsa_exception_fp_ieee_underflow 0
		.amdhsa_exception_fp_ieee_inexact 0
		.amdhsa_exception_int_div_zero 0
	.end_amdhsa_kernel
	.text
.Lfunc_end0:
	.size	fft_rtc_back_len50_factors_10_5_wgs_250_tpt_10_half_op_CI_CI_sbcc_twdbase8_2step, .Lfunc_end0-fft_rtc_back_len50_factors_10_5_wgs_250_tpt_10_half_op_CI_CI_sbcc_twdbase8_2step
                                        ; -- End function
	.section	.AMDGPU.csdata,"",@progbits
; Kernel info:
; codeLenInByte = 5508
; NumSgprs: 63
; NumVgprs: 56
; ScratchSize: 0
; MemoryBound: 0
; FloatMode: 240
; IeeeMode: 1
; LDSByteSize: 0 bytes/workgroup (compile time only)
; SGPRBlocks: 7
; VGPRBlocks: 6
; NumSGPRsForWavesPerEU: 63
; NumVGPRsForWavesPerEU: 56
; Occupancy: 16
; WaveLimiterHint : 1
; COMPUTE_PGM_RSRC2:SCRATCH_EN: 0
; COMPUTE_PGM_RSRC2:USER_SGPR: 2
; COMPUTE_PGM_RSRC2:TRAP_HANDLER: 0
; COMPUTE_PGM_RSRC2:TGID_X_EN: 1
; COMPUTE_PGM_RSRC2:TGID_Y_EN: 0
; COMPUTE_PGM_RSRC2:TGID_Z_EN: 0
; COMPUTE_PGM_RSRC2:TIDIG_COMP_CNT: 0
	.text
	.p2alignl 7, 3214868480
	.fill 96, 4, 3214868480
	.type	__hip_cuid_334027b1349eaac2,@object ; @__hip_cuid_334027b1349eaac2
	.section	.bss,"aw",@nobits
	.globl	__hip_cuid_334027b1349eaac2
__hip_cuid_334027b1349eaac2:
	.byte	0                               ; 0x0
	.size	__hip_cuid_334027b1349eaac2, 1

	.ident	"AMD clang version 19.0.0git (https://github.com/RadeonOpenCompute/llvm-project roc-6.4.0 25133 c7fe45cf4b819c5991fe208aaa96edf142730f1d)"
	.section	".note.GNU-stack","",@progbits
	.addrsig
	.addrsig_sym __hip_cuid_334027b1349eaac2
	.amdgpu_metadata
---
amdhsa.kernels:
  - .args:
      - .actual_access:  read_only
        .address_space:  global
        .offset:         0
        .size:           8
        .value_kind:     global_buffer
      - .address_space:  global
        .offset:         8
        .size:           8
        .value_kind:     global_buffer
      - .offset:         16
        .size:           8
        .value_kind:     by_value
      - .actual_access:  read_only
        .address_space:  global
        .offset:         24
        .size:           8
        .value_kind:     global_buffer
      - .actual_access:  read_only
        .address_space:  global
        .offset:         32
        .size:           8
        .value_kind:     global_buffer
      - .actual_access:  read_only
        .address_space:  global
        .offset:         40
        .size:           8
        .value_kind:     global_buffer
      - .offset:         48
        .size:           8
        .value_kind:     by_value
      - .actual_access:  read_only
        .address_space:  global
        .offset:         56
        .size:           8
        .value_kind:     global_buffer
      - .actual_access:  read_only
        .address_space:  global
        .offset:         64
        .size:           8
        .value_kind:     global_buffer
      - .offset:         72
        .size:           4
        .value_kind:     by_value
      - .actual_access:  read_only
        .address_space:  global
        .offset:         80
        .size:           8
        .value_kind:     global_buffer
      - .actual_access:  read_only
        .address_space:  global
        .offset:         88
        .size:           8
        .value_kind:     global_buffer
      - .actual_access:  read_only
        .address_space:  global
        .offset:         96
        .size:           8
        .value_kind:     global_buffer
      - .actual_access:  write_only
        .address_space:  global
        .offset:         104
        .size:           8
        .value_kind:     global_buffer
    .group_segment_fixed_size: 0
    .kernarg_segment_align: 8
    .kernarg_segment_size: 112
    .language:       OpenCL C
    .language_version:
      - 2
      - 0
    .max_flat_workgroup_size: 250
    .name:           fft_rtc_back_len50_factors_10_5_wgs_250_tpt_10_half_op_CI_CI_sbcc_twdbase8_2step
    .private_segment_fixed_size: 0
    .sgpr_count:     63
    .sgpr_spill_count: 0
    .symbol:         fft_rtc_back_len50_factors_10_5_wgs_250_tpt_10_half_op_CI_CI_sbcc_twdbase8_2step.kd
    .uniform_work_group_size: 1
    .uses_dynamic_stack: false
    .vgpr_count:     56
    .vgpr_spill_count: 0
    .wavefront_size: 32
    .workgroup_processor_mode: 1
amdhsa.target:   amdgcn-amd-amdhsa--gfx1201
amdhsa.version:
  - 1
  - 2
...

	.end_amdgpu_metadata
